;; amdgpu-corpus repo=ROCm/rocFFT kind=compiled arch=gfx1201 opt=O3
	.text
	.amdgcn_target "amdgcn-amd-amdhsa--gfx1201"
	.amdhsa_code_object_version 6
	.protected	bluestein_single_fwd_len486_dim1_sp_op_CI_CI ; -- Begin function bluestein_single_fwd_len486_dim1_sp_op_CI_CI
	.globl	bluestein_single_fwd_len486_dim1_sp_op_CI_CI
	.p2align	8
	.type	bluestein_single_fwd_len486_dim1_sp_op_CI_CI,@function
bluestein_single_fwd_len486_dim1_sp_op_CI_CI: ; @bluestein_single_fwd_len486_dim1_sp_op_CI_CI
; %bb.0:
	s_load_b128 s[4:7], s[0:1], 0x28
	v_mul_u32_u24_e32 v1, 0x195, v0
	s_mov_b32 s2, exec_lo
	v_mov_b32_e32 v29, 0
	s_delay_alu instid0(VALU_DEP_2) | instskip(NEXT) | instid1(VALU_DEP_1)
	v_lshrrev_b32_e32 v1, 16, v1
	v_add_nc_u32_e32 v28, ttmp9, v1
	s_wait_kmcnt 0x0
	s_delay_alu instid0(VALU_DEP_1)
	v_cmpx_gt_u64_e64 s[4:5], v[28:29]
	s_cbranch_execz .LBB0_15
; %bb.1:
	s_clause 0x1
	s_load_b64 s[8:9], s[0:1], 0x0
	s_load_b64 s[4:5], s[0:1], 0x38
	v_mul_lo_u16 v1, 0xa2, v1
	s_delay_alu instid0(VALU_DEP_1) | instskip(NEXT) | instid1(VALU_DEP_1)
	v_sub_nc_u16 v0, v0, v1
	v_and_b32_e32 v29, 0xffff, v0
	v_cmp_gt_u16_e32 vcc_lo, 0x51, v0
	s_delay_alu instid0(VALU_DEP_2)
	v_lshlrev_b32_e32 v30, 3, v29
	s_and_saveexec_b32 s3, vcc_lo
	s_cbranch_execz .LBB0_3
; %bb.2:
	s_load_b64 s[10:11], s[0:1], 0x18
	s_wait_kmcnt 0x0
	s_load_b128 s[12:15], s[10:11], 0x0
	s_wait_kmcnt 0x0
	v_mad_co_u64_u32 v[0:1], null, s14, v28, 0
	v_mad_co_u64_u32 v[2:3], null, s12, v29, 0
	s_delay_alu instid0(VALU_DEP_1) | instskip(NEXT) | instid1(VALU_DEP_1)
	v_mad_co_u64_u32 v[4:5], null, s15, v28, v[1:2]
	v_mad_co_u64_u32 v[5:6], null, s13, v29, v[3:4]
	v_mov_b32_e32 v1, v4
	s_delay_alu instid0(VALU_DEP_1) | instskip(NEXT) | instid1(VALU_DEP_3)
	v_lshlrev_b64_e32 v[0:1], 3, v[0:1]
	v_mov_b32_e32 v3, v5
	s_clause 0x3
	global_load_b64 v[4:5], v30, s[8:9]
	global_load_b64 v[6:7], v30, s[8:9] offset:648
	global_load_b64 v[8:9], v30, s[8:9] offset:1296
	global_load_b64 v[10:11], v30, s[8:9] offset:1944
	v_add_co_u32 v0, s2, s6, v0
	v_lshlrev_b64_e32 v[2:3], 3, v[2:3]
	v_add_co_ci_u32_e64 v1, s2, s7, v1, s2
	s_mul_u64 s[6:7], s[12:13], 0x288
	s_delay_alu instid0(VALU_DEP_2) | instskip(SKIP_1) | instid1(VALU_DEP_2)
	v_add_co_u32 v0, s2, v0, v2
	s_wait_alu 0xf1ff
	v_add_co_ci_u32_e64 v1, s2, v1, v3, s2
	s_wait_alu 0xfffe
	s_delay_alu instid0(VALU_DEP_2) | instskip(SKIP_1) | instid1(VALU_DEP_2)
	v_add_co_u32 v2, s2, v0, s6
	s_wait_alu 0xf1ff
	v_add_co_ci_u32_e64 v3, s2, s7, v1, s2
	global_load_b64 v[0:1], v[0:1], off
	v_add_co_u32 v12, s2, v2, s6
	s_wait_alu 0xf1ff
	v_add_co_ci_u32_e64 v13, s2, s7, v3, s2
	s_delay_alu instid0(VALU_DEP_2) | instskip(SKIP_1) | instid1(VALU_DEP_2)
	v_add_co_u32 v14, s2, v12, s6
	s_wait_alu 0xf1ff
	v_add_co_ci_u32_e64 v15, s2, s7, v13, s2
	s_clause 0x1
	global_load_b64 v[2:3], v[2:3], off
	global_load_b64 v[12:13], v[12:13], off
	v_add_co_u32 v16, s2, v14, s6
	s_wait_alu 0xf1ff
	v_add_co_ci_u32_e64 v17, s2, s7, v15, s2
	global_load_b64 v[14:15], v[14:15], off
	v_add_co_u32 v18, s2, v16, s6
	s_wait_alu 0xf1ff
	v_add_co_ci_u32_e64 v19, s2, s7, v17, s2
	global_load_b64 v[16:17], v[16:17], off
	s_clause 0x1
	global_load_b64 v[20:21], v30, s[8:9] offset:2592
	global_load_b64 v[22:23], v30, s[8:9] offset:3240
	global_load_b64 v[18:19], v[18:19], off
	s_wait_loadcnt 0x7
	v_mul_f32_e32 v24, v1, v5
	v_mul_f32_e32 v5, v0, v5
	s_delay_alu instid0(VALU_DEP_1) | instskip(SKIP_1) | instid1(VALU_DEP_3)
	v_fma_f32 v25, v1, v4, -v5
	s_wait_loadcnt 0x6
	v_dual_mul_f32 v1, v2, v7 :: v_dual_fmac_f32 v24, v0, v4
	v_mul_f32_e32 v0, v3, v7
	s_wait_loadcnt 0x5
	v_mul_f32_e32 v4, v13, v9
	v_mul_f32_e32 v5, v12, v9
	v_fma_f32 v1, v3, v6, -v1
	s_wait_loadcnt 0x4
	v_mul_f32_e32 v3, v14, v11
	v_fmac_f32_e32 v0, v2, v6
	v_mul_f32_e32 v2, v15, v11
	v_fmac_f32_e32 v4, v12, v8
	v_fma_f32 v5, v13, v8, -v5
	s_wait_loadcnt 0x0
	v_dual_mul_f32 v9, v18, v23 :: v_dual_mul_f32 v6, v17, v21
	v_dual_fmac_f32 v2, v14, v10 :: v_dual_mul_f32 v7, v16, v21
	v_mul_f32_e32 v8, v19, v23
	v_fma_f32 v3, v15, v10, -v3
	s_delay_alu instid0(VALU_DEP_4)
	v_fmac_f32_e32 v6, v16, v20
	v_fma_f32 v9, v19, v22, -v9
	v_fma_f32 v7, v17, v20, -v7
	v_fmac_f32_e32 v8, v18, v22
	v_add_nc_u32_e32 v10, 0x800, v30
	ds_store_2addr_b64 v30, v[24:25], v[0:1] offset1:81
	ds_store_2addr_b64 v30, v[4:5], v[2:3] offset0:162 offset1:243
	ds_store_2addr_b64 v10, v[6:7], v[8:9] offset0:68 offset1:149
.LBB0_3:
	s_or_b32 exec_lo, exec_lo, s3
	s_clause 0x1
	s_load_b64 s[2:3], s[0:1], 0x20
	s_load_b64 s[6:7], s[0:1], 0x8
	global_wb scope:SCOPE_SE
	s_wait_dscnt 0x0
	s_wait_kmcnt 0x0
	s_barrier_signal -1
	s_barrier_wait -1
	global_inv scope:SCOPE_SE
                                        ; implicit-def: $vgpr0
                                        ; implicit-def: $vgpr8
                                        ; implicit-def: $vgpr4
	s_and_saveexec_b32 s0, vcc_lo
	s_cbranch_execz .LBB0_5
; %bb.4:
	v_add_nc_u32_e32 v4, 0x800, v30
	ds_load_2addr_b64 v[0:3], v30 offset1:81
	ds_load_2addr_b64 v[8:11], v30 offset0:162 offset1:243
	ds_load_2addr_b64 v[4:7], v4 offset0:68 offset1:149
.LBB0_5:
	s_wait_alu 0xfffe
	s_or_b32 exec_lo, exec_lo, s0
	s_wait_dscnt 0x0
	v_dual_add_f32 v12, v8, v4 :: v_dual_add_f32 v15, v1, v9
	v_dual_add_f32 v13, v0, v8 :: v_dual_sub_f32 v14, v9, v5
	s_delay_alu instid0(VALU_DEP_2) | instskip(SKIP_1) | instid1(VALU_DEP_2)
	v_dual_add_f32 v9, v9, v5 :: v_dual_fmac_f32 v0, -0.5, v12
	v_dual_sub_f32 v16, v8, v4 :: v_dual_add_f32 v17, v10, v6
	v_dual_add_f32 v8, v13, v4 :: v_dual_fmac_f32 v1, -0.5, v9
	v_dual_add_f32 v4, v11, v7 :: v_dual_add_f32 v9, v2, v10
	s_delay_alu instid0(VALU_DEP_4) | instskip(NEXT) | instid1(VALU_DEP_4)
	v_fmamk_f32 v12, v14, 0x3f5db3d7, v0
	v_dual_fmac_f32 v2, -0.5, v17 :: v_dual_sub_f32 v17, v11, v7
	v_add_f32_e32 v11, v3, v11
	s_delay_alu instid0(VALU_DEP_4) | instskip(SKIP_2) | instid1(VALU_DEP_3)
	v_dual_fmac_f32 v3, -0.5, v4 :: v_dual_sub_f32 v4, v10, v6
	v_dual_fmac_f32 v0, 0xbf5db3d7, v14 :: v_dual_add_f32 v13, v15, v5
	v_dual_fmamk_f32 v14, v16, 0xbf5db3d7, v1 :: v_dual_add_f32 v15, v9, v6
	v_fmamk_f32 v10, v4, 0xbf5db3d7, v3
	v_fmamk_f32 v5, v17, 0x3f5db3d7, v2
	v_fmac_f32_e32 v3, 0x3f5db3d7, v4
	v_fmac_f32_e32 v2, 0xbf5db3d7, v17
	;; [unrolled: 1-line block ×3, first 2 shown]
	v_add_f32_e32 v19, v11, v7
	v_mul_lo_u16 v31, v29, 6
	v_mul_f32_e32 v9, -0.5, v3
	v_mul_f32_e32 v17, -0.5, v2
	v_mul_f32_e32 v16, 0x3f5db3d7, v10
	v_dual_mul_f32 v18, 0xbf5db3d7, v5 :: v_dual_sub_f32 v11, v13, v19
	s_delay_alu instid0(VALU_DEP_4)
	v_fmac_f32_e32 v9, 0xbf5db3d7, v2
	global_wb scope:SCOPE_SE
	v_fmac_f32_e32 v16, 0.5, v5
	v_fmac_f32_e32 v18, 0.5, v10
	v_sub_f32_e32 v10, v8, v15
	v_fmac_f32_e32 v17, 0x3f5db3d7, v3
	s_delay_alu instid0(VALU_DEP_4) | instskip(NEXT) | instid1(VALU_DEP_4)
	v_dual_sub_f32 v7, v1, v9 :: v_dual_sub_f32 v4, v12, v16
	v_sub_f32_e32 v5, v14, v18
	s_barrier_signal -1
	s_delay_alu instid0(VALU_DEP_3)
	v_sub_f32_e32 v6, v0, v17
	s_barrier_wait -1
	global_inv scope:SCOPE_SE
	s_and_saveexec_b32 s0, vcc_lo
	s_cbranch_execz .LBB0_7
; %bb.6:
	v_dual_add_f32 v9, v1, v9 :: v_dual_add_f32 v20, v12, v16
	v_and_b32_e32 v1, 0xffff, v31
	v_dual_add_f32 v21, v14, v18 :: v_dual_add_f32 v18, v8, v15
	v_dual_add_f32 v19, v13, v19 :: v_dual_add_f32 v8, v0, v17
	s_delay_alu instid0(VALU_DEP_3)
	v_lshlrev_b32_e32 v1, 3, v1
	ds_store_b128 v1, v[18:21]
	ds_store_b128 v1, v[8:11] offset:16
	ds_store_b128 v1, v[4:7] offset:32
.LBB0_7:
	s_wait_alu 0xfffe
	s_or_b32 exec_lo, exec_lo, s0
	v_and_b32_e32 v16, 0xff, v29
	s_load_b128 s[0:3], s[2:3], 0x0
	global_wb scope:SCOPE_SE
	s_wait_dscnt 0x0
	s_wait_kmcnt 0x0
	s_barrier_signal -1
	s_barrier_wait -1
	v_mul_lo_u16 v0, 0xab, v16
	global_inv scope:SCOPE_SE
	v_lshrrev_b16 v17, 10, v0
	s_delay_alu instid0(VALU_DEP_1) | instskip(NEXT) | instid1(VALU_DEP_1)
	v_mul_lo_u16 v0, v17, 6
	v_sub_nc_u16 v0, v29, v0
	s_delay_alu instid0(VALU_DEP_1) | instskip(NEXT) | instid1(VALU_DEP_1)
	v_and_b32_e32 v18, 0xff, v0
	v_lshlrev_b32_e32 v0, 4, v18
	global_load_b128 v[0:3], v0, s[6:7]
	ds_load_2addr_b64 v[12:15], v30 offset1:162
	ds_load_b64 v[8:9], v30 offset:2592
	v_and_b32_e32 v17, 0xffff, v17
	global_wb scope:SCOPE_SE
	s_wait_loadcnt_dscnt 0x0
	s_barrier_signal -1
	s_barrier_wait -1
	global_inv scope:SCOPE_SE
	v_dual_mul_f32 v22, v9, v3 :: v_dual_mul_f32 v23, v14, v1
	v_mul_u32_u24_e32 v17, 18, v17
	s_delay_alu instid0(VALU_DEP_2) | instskip(SKIP_1) | instid1(VALU_DEP_2)
	v_dual_mul_f32 v24, v8, v3 :: v_dual_fmac_f32 v23, v15, v0
	v_mul_lo_u16 v19, v16, 57
	v_fmac_f32_e32 v24, v9, v2
	s_delay_alu instid0(VALU_DEP_2) | instskip(NEXT) | instid1(VALU_DEP_2)
	v_lshrrev_b16 v20, 10, v19
	v_add_f32_e32 v9, v23, v24
	s_delay_alu instid0(VALU_DEP_2) | instskip(NEXT) | instid1(VALU_DEP_2)
	v_mul_lo_u16 v19, v20, 18
	v_fma_f32 v9, -0.5, v9, v13
	s_delay_alu instid0(VALU_DEP_2) | instskip(NEXT) | instid1(VALU_DEP_1)
	v_sub_nc_u16 v19, v29, v19
	v_and_b32_e32 v21, 0xff, v19
	v_mul_f32_e32 v19, v15, v1
	v_add_lshl_u32 v32, v17, v18, 3
	v_fma_f32 v17, v8, v2, -v22
	v_add_f32_e32 v22, v13, v23
	s_delay_alu instid0(VALU_DEP_4) | instskip(SKIP_1) | instid1(VALU_DEP_3)
	v_fma_f32 v14, v14, v0, -v19
	v_dual_sub_f32 v19, v23, v24 :: v_dual_lshlrev_b32 v18, 4, v21
	v_add_f32_e32 v13, v22, v24
	v_mul_lo_u16 v22, v16, 19
	s_delay_alu instid0(VALU_DEP_4) | instskip(SKIP_1) | instid1(VALU_DEP_3)
	v_dual_add_f32 v8, v14, v17 :: v_dual_add_f32 v15, v12, v14
	v_sub_f32_e32 v23, v14, v17
	v_lshrrev_b16 v24, 10, v22
	s_delay_alu instid0(VALU_DEP_3) | instskip(NEXT) | instid1(VALU_DEP_4)
	v_fma_f32 v8, -0.5, v8, v12
	v_add_f32_e32 v12, v15, v17
	s_delay_alu instid0(VALU_DEP_4)
	v_fmamk_f32 v15, v23, 0xbf5db3d7, v9
	v_fmac_f32_e32 v9, 0x3f5db3d7, v23
	v_mul_lo_u16 v22, v24, 54
	v_fmamk_f32 v14, v19, 0x3f5db3d7, v8
	v_fmac_f32_e32 v8, 0xbf5db3d7, v19
	ds_store_2addr_b64 v32, v[12:13], v[14:15] offset1:6
	ds_store_b64 v32, v[8:9] offset:96
	global_wb scope:SCOPE_SE
	s_wait_dscnt 0x0
	s_barrier_signal -1
	s_barrier_wait -1
	global_inv scope:SCOPE_SE
	global_load_b128 v[12:15], v18, s[6:7] offset:96
	ds_load_2addr_b64 v[16:19], v30 offset1:162
	ds_load_b64 v[8:9], v30 offset:2592
	v_and_b32_e32 v20, 0xffff, v20
	v_sub_nc_u16 v22, v29, v22
	global_wb scope:SCOPE_SE
	s_wait_loadcnt_dscnt 0x0
	s_barrier_signal -1
	s_barrier_wait -1
	global_inv scope:SCOPE_SE
	v_dual_mul_f32 v22, v19, v13 :: v_dual_and_b32 v25, 0xff, v22
	v_mul_f32_e32 v23, v9, v15
	v_mul_u32_u24_e32 v20, 54, v20
	v_dual_mul_f32 v26, v18, v13 :: v_dual_mul_f32 v27, v8, v15
	s_delay_alu instid0(VALU_DEP_4) | instskip(NEXT) | instid1(VALU_DEP_3)
	v_fma_f32 v18, v18, v12, -v22
	v_add_lshl_u32 v33, v20, v21, 3
	v_fma_f32 v20, v8, v14, -v23
	s_delay_alu instid0(VALU_DEP_4) | instskip(SKIP_1) | instid1(VALU_DEP_3)
	v_dual_fmac_f32 v26, v19, v12 :: v_dual_fmac_f32 v27, v9, v14
	v_lshlrev_b32_e32 v21, 4, v25
	v_dual_add_f32 v19, v16, v18 :: v_dual_add_f32 v8, v18, v20
	s_delay_alu instid0(VALU_DEP_3) | instskip(SKIP_2) | instid1(VALU_DEP_4)
	v_dual_add_f32 v23, v17, v26 :: v_dual_sub_f32 v22, v26, v27
	v_add_f32_e32 v9, v26, v27
	v_sub_f32_e32 v26, v18, v20
	v_fma_f32 v8, -0.5, v8, v16
	v_add_f32_e32 v16, v19, v20
	s_delay_alu instid0(VALU_DEP_4) | instskip(NEXT) | instid1(VALU_DEP_3)
	v_fma_f32 v9, -0.5, v9, v17
	v_dual_add_f32 v17, v23, v27 :: v_dual_fmamk_f32 v18, v22, 0x3f5db3d7, v8
	s_delay_alu instid0(VALU_DEP_2)
	v_dual_fmac_f32 v8, 0xbf5db3d7, v22 :: v_dual_fmamk_f32 v19, v26, 0xbf5db3d7, v9
	v_dual_fmac_f32 v9, 0x3f5db3d7, v26 :: v_dual_lshlrev_b32 v26, 4, v29
	ds_store_2addr_b64 v33, v[16:17], v[18:19] offset1:18
	ds_store_b64 v33, v[8:9] offset:288
	global_wb scope:SCOPE_SE
	s_wait_dscnt 0x0
	s_barrier_signal -1
	s_barrier_wait -1
	global_inv scope:SCOPE_SE
	global_load_b128 v[16:19], v21, s[6:7] offset:384
	ds_load_2addr_b64 v[20:23], v30 offset1:162
	ds_load_b64 v[8:9], v30 offset:2592
	v_and_b32_e32 v24, 0xffff, v24
	global_wb scope:SCOPE_SE
	s_wait_loadcnt_dscnt 0x0
	s_barrier_signal -1
	s_barrier_wait -1
	global_inv scope:SCOPE_SE
	v_dual_mul_f32 v27, v23, v17 :: v_dual_mul_f32 v34, v9, v19
	v_dual_mul_f32 v35, v22, v17 :: v_dual_mul_f32 v36, v8, v19
	v_mul_u32_u24_e32 v24, 0xa2, v24
	s_delay_alu instid0(VALU_DEP_3) | instskip(NEXT) | instid1(VALU_DEP_4)
	v_fma_f32 v22, v22, v16, -v27
	v_fma_f32 v27, v8, v18, -v34
	s_delay_alu instid0(VALU_DEP_4) | instskip(NEXT) | instid1(VALU_DEP_4)
	v_dual_fmac_f32 v35, v23, v16 :: v_dual_fmac_f32 v36, v9, v18
	v_add_lshl_u32 v34, v24, v25, 3
	s_delay_alu instid0(VALU_DEP_3) | instskip(NEXT) | instid1(VALU_DEP_3)
	v_dual_add_f32 v23, v20, v22 :: v_dual_add_f32 v8, v22, v27
	v_dual_add_f32 v25, v21, v35 :: v_dual_sub_f32 v24, v35, v36
	s_delay_alu instid0(VALU_DEP_2) | instskip(SKIP_3) | instid1(VALU_DEP_4)
	v_fma_f32 v8, -0.5, v8, v20
	v_add_f32_e32 v9, v35, v36
	v_sub_f32_e32 v35, v22, v27
	v_add_f32_e32 v20, v23, v27
	v_fmamk_f32 v22, v24, 0x3f5db3d7, v8
	s_delay_alu instid0(VALU_DEP_4) | instskip(SKIP_1) | instid1(VALU_DEP_2)
	v_fma_f32 v9, -0.5, v9, v21
	v_add_f32_e32 v21, v25, v36
	v_dual_fmac_f32 v8, 0xbf5db3d7, v24 :: v_dual_fmamk_f32 v23, v35, 0xbf5db3d7, v9
	v_fmac_f32_e32 v9, 0x3f5db3d7, v35
	ds_store_2addr_b64 v34, v[20:21], v[22:23] offset1:54
	ds_store_b64 v34, v[8:9] offset:864
	global_wb scope:SCOPE_SE
	s_wait_dscnt 0x0
	s_barrier_signal -1
	s_barrier_wait -1
	global_inv scope:SCOPE_SE
	global_load_b128 v[20:23], v26, s[6:7] offset:1248
	ds_load_2addr_b64 v[24:27], v30 offset1:162
	ds_load_b64 v[8:9], v30 offset:2592
	s_wait_loadcnt_dscnt 0x0
	v_dual_mul_f32 v35, v27, v21 :: v_dual_mul_f32 v36, v9, v23
	v_dual_mul_f32 v37, v26, v21 :: v_dual_mul_f32 v38, v8, v23
	s_delay_alu instid0(VALU_DEP_2) | instskip(NEXT) | instid1(VALU_DEP_3)
	v_fma_f32 v26, v26, v20, -v35
	v_fma_f32 v35, v8, v22, -v36
	s_delay_alu instid0(VALU_DEP_3) | instskip(NEXT) | instid1(VALU_DEP_2)
	v_dual_fmac_f32 v37, v27, v20 :: v_dual_fmac_f32 v38, v9, v22
	v_dual_add_f32 v27, v24, v26 :: v_dual_add_f32 v8, v26, v35
	s_delay_alu instid0(VALU_DEP_2) | instskip(SKIP_1) | instid1(VALU_DEP_3)
	v_add_f32_e32 v9, v37, v38
	v_sub_f32_e32 v36, v37, v38
	v_fma_f32 v8, -0.5, v8, v24
	s_delay_alu instid0(VALU_DEP_4) | instskip(SKIP_2) | instid1(VALU_DEP_4)
	v_dual_add_f32 v24, v27, v35 :: v_dual_add_f32 v37, v25, v37
	v_sub_f32_e32 v39, v26, v35
	v_fma_f32 v9, -0.5, v9, v25
	v_fmamk_f32 v26, v36, 0x3f5db3d7, v8
	s_delay_alu instid0(VALU_DEP_4) | instskip(NEXT) | instid1(VALU_DEP_3)
	v_dual_fmac_f32 v8, 0xbf5db3d7, v36 :: v_dual_add_f32 v25, v37, v38
	v_fmamk_f32 v27, v39, 0xbf5db3d7, v9
	v_fmac_f32_e32 v9, 0x3f5db3d7, v39
	ds_store_2addr_b64 v30, v[24:25], v[26:27] offset1:162
	ds_store_b64 v30, v[8:9] offset:2592
	global_wb scope:SCOPE_SE
	s_wait_dscnt 0x0
	s_barrier_signal -1
	s_barrier_wait -1
	global_inv scope:SCOPE_SE
	s_and_saveexec_b32 s6, vcc_lo
	s_cbranch_execz .LBB0_9
; %bb.8:
	s_add_nc_u64 s[10:11], s[8:9], 0xf30
	s_clause 0x5
	global_load_b64 v[35:36], v30, s[8:9] offset:3888
	global_load_b64 v[37:38], v30, s[10:11] offset:648
	;; [unrolled: 1-line block ×6, first 2 shown]
	ds_load_b64 v[47:48], v30
	ds_load_b64 v[49:50], v30 offset:648
	ds_load_b64 v[51:52], v30 offset:1296
	;; [unrolled: 1-line block ×5, first 2 shown]
	s_wait_loadcnt_dscnt 0x505
	v_mul_f32_e32 v59, v48, v36
	s_wait_loadcnt_dscnt 0x404
	v_dual_mul_f32 v60, v47, v36 :: v_dual_mul_f32 v61, v50, v38
	v_mul_f32_e32 v36, v49, v38
	s_wait_loadcnt_dscnt 0x202
	v_dual_mul_f32 v62, v52, v40 :: v_dual_mul_f32 v63, v54, v42
	s_wait_loadcnt_dscnt 0x0
	v_dual_mul_f32 v38, v51, v40 :: v_dual_mul_f32 v65, v58, v46
	v_mul_f32_e32 v40, v53, v42
	v_mul_f32_e32 v64, v56, v44
	;; [unrolled: 1-line block ×4, first 2 shown]
	v_fma_f32 v59, v47, v35, -v59
	v_fmac_f32_e32 v60, v48, v35
	v_fma_f32 v35, v49, v37, -v61
	v_fmac_f32_e32 v36, v50, v37
	;; [unrolled: 2-line block ×6, first 2 shown]
	ds_store_b64 v30, v[59:60]
	ds_store_b64 v30, v[35:36] offset:648
	ds_store_b64 v30, v[37:38] offset:1296
	;; [unrolled: 1-line block ×5, first 2 shown]
.LBB0_9:
	s_wait_alu 0xfffe
	s_or_b32 exec_lo, exec_lo, s6
	global_wb scope:SCOPE_SE
	s_wait_dscnt 0x0
	s_barrier_signal -1
	s_barrier_wait -1
	global_inv scope:SCOPE_SE
	s_and_saveexec_b32 s6, vcc_lo
	s_cbranch_execz .LBB0_11
; %bb.10:
	v_add_nc_u32_e32 v4, 0x800, v30
	ds_load_2addr_b64 v[24:27], v30 offset1:81
	ds_load_2addr_b64 v[8:11], v30 offset0:162 offset1:243
	ds_load_2addr_b64 v[4:7], v4 offset0:68 offset1:149
.LBB0_11:
	s_wait_alu 0xfffe
	s_or_b32 exec_lo, exec_lo, s6
	global_wb scope:SCOPE_SE
	s_wait_dscnt 0x0
	s_barrier_signal -1
	s_barrier_wait -1
	global_inv scope:SCOPE_SE
	s_and_saveexec_b32 s6, vcc_lo
	s_cbranch_execz .LBB0_13
; %bb.12:
	v_dual_add_f32 v35, v11, v7 :: v_dual_add_f32 v36, v9, v5
	v_dual_add_f32 v37, v10, v6 :: v_dual_sub_f32 v40, v11, v7
	v_dual_sub_f32 v38, v10, v6 :: v_dual_sub_f32 v39, v8, v4
	s_delay_alu instid0(VALU_DEP_3) | instskip(NEXT) | instid1(VALU_DEP_3)
	v_fma_f32 v35, -0.5, v35, v27
	v_fma_f32 v37, -0.5, v37, v26
	v_add_f32_e32 v41, v25, v9
	v_fma_f32 v36, -0.5, v36, v25
	s_delay_alu instid0(VALU_DEP_4) | instskip(SKIP_2) | instid1(VALU_DEP_4)
	v_dual_add_f32 v25, v8, v4 :: v_dual_fmamk_f32 v42, v38, 0xbf5db3d7, v35
	v_fmac_f32_e32 v35, 0x3f5db3d7, v38
	v_add_f32_e32 v11, v27, v11
	v_fmamk_f32 v44, v39, 0xbf5db3d7, v36
	v_fmac_f32_e32 v36, 0x3f5db3d7, v39
	s_delay_alu instid0(VALU_DEP_4) | instskip(SKIP_3) | instid1(VALU_DEP_3)
	v_dual_fmamk_f32 v38, v40, 0x3f5db3d7, v37 :: v_dual_mul_f32 v43, 0.5, v35
	v_dual_fmac_f32 v37, 0xbf5db3d7, v40 :: v_dual_mul_f32 v40, -0.5, v42
	v_dual_mul_f32 v42, 0xbf5db3d7, v42 :: v_dual_add_f32 v39, v41, v5
	v_fma_f32 v41, -0.5, v25, v24
	v_dual_fmac_f32 v43, 0x3f5db3d7, v37 :: v_dual_fmac_f32 v40, 0x3f5db3d7, v38
	s_delay_alu instid0(VALU_DEP_3) | instskip(SKIP_1) | instid1(VALU_DEP_3)
	v_dual_fmac_f32 v42, -0.5, v38 :: v_dual_mul_f32 v35, 0xbf5db3d7, v35
	v_sub_f32_e32 v5, v9, v5
	v_sub_f32_e32 v25, v36, v43
	v_add_f32_e32 v9, v11, v7
	v_and_b32_e32 v31, 0xffff, v31
	v_fmac_f32_e32 v35, 0.5, v37
	v_dual_add_f32 v7, v24, v8 :: v_dual_add_f32 v8, v26, v10
	v_add_f32_e32 v11, v36, v43
	s_delay_alu instid0(VALU_DEP_2) | instskip(SKIP_1) | instid1(VALU_DEP_4)
	v_dual_add_f32 v4, v7, v4 :: v_dual_lshlrev_b32 v31, 3, v31
	v_dual_sub_f32 v27, v44, v40 :: v_dual_fmamk_f32 v24, v5, 0x3f5db3d7, v41
	v_dual_add_f32 v8, v8, v6 :: v_dual_fmac_f32 v41, 0xbf5db3d7, v5
	v_sub_f32_e32 v7, v39, v9
	s_delay_alu instid0(VALU_DEP_3) | instskip(NEXT) | instid1(VALU_DEP_3)
	v_dual_add_f32 v9, v39, v9 :: v_dual_sub_f32 v26, v24, v42
	v_sub_f32_e32 v6, v4, v8
	v_add_f32_e32 v8, v4, v8
	v_add_f32_e32 v4, v24, v42
	v_dual_add_f32 v10, v41, v35 :: v_dual_add_f32 v5, v44, v40
	v_sub_f32_e32 v24, v41, v35
	ds_store_b128 v31, v[8:11]
	ds_store_b128 v31, v[4:7] offset:16
	ds_store_b128 v31, v[24:27] offset:32
.LBB0_13:
	s_wait_alu 0xfffe
	s_or_b32 exec_lo, exec_lo, s6
	global_wb scope:SCOPE_SE
	s_wait_dscnt 0x0
	s_barrier_signal -1
	s_barrier_wait -1
	global_inv scope:SCOPE_SE
	ds_load_2addr_b64 v[4:7], v30 offset1:162
	ds_load_b64 v[8:9], v30 offset:2592
	global_wb scope:SCOPE_SE
	s_wait_dscnt 0x0
	s_barrier_signal -1
	s_barrier_wait -1
	global_inv scope:SCOPE_SE
	v_dual_mul_f32 v10, v1, v7 :: v_dual_mul_f32 v11, v3, v9
	s_delay_alu instid0(VALU_DEP_1) | instskip(NEXT) | instid1(VALU_DEP_2)
	v_dual_mul_f32 v3, v3, v8 :: v_dual_fmac_f32 v10, v0, v6
	v_fmac_f32_e32 v11, v2, v8
	s_delay_alu instid0(VALU_DEP_2) | instskip(SKIP_1) | instid1(VALU_DEP_4)
	v_fma_f32 v3, v2, v9, -v3
	v_mul_f32_e32 v1, v1, v6
	v_add_f32_e32 v2, v4, v10
	s_delay_alu instid0(VALU_DEP_2) | instskip(NEXT) | instid1(VALU_DEP_1)
	v_fma_f32 v0, v0, v7, -v1
	v_dual_add_f32 v1, v10, v11 :: v_dual_add_f32 v8, v5, v0
	v_add_f32_e32 v6, v0, v3
	v_sub_f32_e32 v7, v0, v3
	s_delay_alu instid0(VALU_DEP_3) | instskip(SKIP_3) | instid1(VALU_DEP_4)
	v_fma_f32 v0, -0.5, v1, v4
	v_sub_f32_e32 v9, v10, v11
	v_add_f32_e32 v3, v8, v3
	v_fma_f32 v1, -0.5, v6, v5
	v_fmamk_f32 v4, v7, 0xbf5db3d7, v0
	v_add_f32_e32 v2, v2, v11
	s_delay_alu instid0(VALU_DEP_3)
	v_dual_fmac_f32 v0, 0x3f5db3d7, v7 :: v_dual_fmamk_f32 v5, v9, 0x3f5db3d7, v1
	v_fmac_f32_e32 v1, 0xbf5db3d7, v9
	ds_store_2addr_b64 v32, v[2:3], v[4:5] offset1:6
	ds_store_b64 v32, v[0:1] offset:96
	global_wb scope:SCOPE_SE
	s_wait_dscnt 0x0
	s_barrier_signal -1
	s_barrier_wait -1
	global_inv scope:SCOPE_SE
	ds_load_2addr_b64 v[0:3], v30 offset1:162
	ds_load_b64 v[4:5], v30 offset:2592
	global_wb scope:SCOPE_SE
	s_wait_dscnt 0x0
	s_barrier_signal -1
	s_barrier_wait -1
	global_inv scope:SCOPE_SE
	v_mul_f32_e32 v6, v13, v3
	v_dual_mul_f32 v8, v13, v2 :: v_dual_mul_f32 v9, v15, v4
	s_delay_alu instid0(VALU_DEP_2) | instskip(NEXT) | instid1(VALU_DEP_2)
	v_dual_mul_f32 v7, v15, v5 :: v_dual_fmac_f32 v6, v12, v2
	v_fma_f32 v2, v12, v3, -v8
	s_delay_alu instid0(VALU_DEP_3) | instskip(NEXT) | instid1(VALU_DEP_3)
	v_fma_f32 v3, v14, v5, -v9
	v_add_f32_e32 v5, v0, v6
	s_delay_alu instid0(VALU_DEP_2) | instskip(SKIP_1) | instid1(VALU_DEP_1)
	v_dual_add_f32 v10, v1, v2 :: v_dual_sub_f32 v9, v2, v3
	v_fmac_f32_e32 v7, v14, v4
	v_add_f32_e32 v4, v6, v7
	s_delay_alu instid0(VALU_DEP_1) | instskip(NEXT) | instid1(VALU_DEP_1)
	v_fma_f32 v0, -0.5, v4, v0
	v_fmamk_f32 v4, v9, 0xbf5db3d7, v0
	v_sub_f32_e32 v6, v6, v7
	v_add_f32_e32 v8, v2, v3
	v_dual_add_f32 v3, v10, v3 :: v_dual_fmac_f32 v0, 0x3f5db3d7, v9
	s_delay_alu instid0(VALU_DEP_2) | instskip(NEXT) | instid1(VALU_DEP_1)
	v_fma_f32 v1, -0.5, v8, v1
	v_dual_add_f32 v2, v5, v7 :: v_dual_fmamk_f32 v5, v6, 0x3f5db3d7, v1
	v_fmac_f32_e32 v1, 0xbf5db3d7, v6
	ds_store_2addr_b64 v33, v[2:3], v[4:5] offset1:18
	ds_store_b64 v33, v[0:1] offset:288
	global_wb scope:SCOPE_SE
	s_wait_dscnt 0x0
	s_barrier_signal -1
	s_barrier_wait -1
	global_inv scope:SCOPE_SE
	ds_load_2addr_b64 v[0:3], v30 offset1:162
	ds_load_b64 v[4:5], v30 offset:2592
	global_wb scope:SCOPE_SE
	s_wait_dscnt 0x0
	s_barrier_signal -1
	s_barrier_wait -1
	global_inv scope:SCOPE_SE
	v_dual_mul_f32 v6, v17, v3 :: v_dual_mul_f32 v9, v19, v4
	v_dual_mul_f32 v7, v19, v5 :: v_dual_mul_f32 v8, v17, v2
	s_delay_alu instid0(VALU_DEP_1) | instskip(NEXT) | instid1(VALU_DEP_2)
	v_dual_fmac_f32 v6, v16, v2 :: v_dual_fmac_f32 v7, v18, v4
	v_fma_f32 v2, v16, v3, -v8
	s_delay_alu instid0(VALU_DEP_4) | instskip(NEXT) | instid1(VALU_DEP_3)
	v_fma_f32 v3, v18, v5, -v9
	v_dual_add_f32 v5, v0, v6 :: v_dual_add_f32 v4, v6, v7
	v_sub_f32_e32 v6, v6, v7
	s_delay_alu instid0(VALU_DEP_3) | instskip(SKIP_1) | instid1(VALU_DEP_4)
	v_add_f32_e32 v8, v2, v3
	v_dual_sub_f32 v9, v2, v3 :: v_dual_add_f32 v10, v1, v2
	v_fma_f32 v0, -0.5, v4, v0
	s_delay_alu instid0(VALU_DEP_3) | instskip(SKIP_1) | instid1(VALU_DEP_3)
	v_fma_f32 v1, -0.5, v8, v1
	v_add_f32_e32 v2, v5, v7
	v_dual_add_f32 v3, v10, v3 :: v_dual_fmamk_f32 v4, v9, 0xbf5db3d7, v0
	s_delay_alu instid0(VALU_DEP_3)
	v_dual_fmac_f32 v0, 0x3f5db3d7, v9 :: v_dual_fmamk_f32 v5, v6, 0x3f5db3d7, v1
	v_fmac_f32_e32 v1, 0xbf5db3d7, v6
	ds_store_2addr_b64 v34, v[2:3], v[4:5] offset1:54
	ds_store_b64 v34, v[0:1] offset:864
	global_wb scope:SCOPE_SE
	s_wait_dscnt 0x0
	s_barrier_signal -1
	s_barrier_wait -1
	global_inv scope:SCOPE_SE
	ds_load_2addr_b64 v[0:3], v30 offset1:162
	ds_load_b64 v[4:5], v30 offset:2592
	s_wait_dscnt 0x0
	v_dual_mul_f32 v8, v21, v2 :: v_dual_mul_f32 v7, v23, v5
	v_dual_mul_f32 v6, v21, v3 :: v_dual_mul_f32 v9, v23, v4
	s_delay_alu instid0(VALU_DEP_1) | instskip(NEXT) | instid1(VALU_DEP_3)
	v_dual_fmac_f32 v7, v22, v4 :: v_dual_fmac_f32 v6, v20, v2
	v_fma_f32 v2, v20, v3, -v8
	s_delay_alu instid0(VALU_DEP_3) | instskip(NEXT) | instid1(VALU_DEP_2)
	v_fma_f32 v3, v22, v5, -v9
	v_add_f32_e32 v10, v1, v2
	s_delay_alu instid0(VALU_DEP_2) | instskip(SKIP_1) | instid1(VALU_DEP_3)
	v_add_f32_e32 v8, v2, v3
	v_sub_f32_e32 v9, v2, v3
	v_add_f32_e32 v3, v10, v3
	v_dual_add_f32 v4, v6, v7 :: v_dual_add_f32 v5, v0, v6
	v_sub_f32_e32 v6, v6, v7
	v_fma_f32 v1, -0.5, v8, v1
	s_delay_alu instid0(VALU_DEP_3) | instskip(NEXT) | instid1(VALU_DEP_2)
	v_fma_f32 v0, -0.5, v4, v0
	v_dual_add_f32 v2, v5, v7 :: v_dual_fmamk_f32 v5, v6, 0x3f5db3d7, v1
	s_delay_alu instid0(VALU_DEP_2)
	v_dual_fmac_f32 v1, 0xbf5db3d7, v6 :: v_dual_fmamk_f32 v4, v9, 0xbf5db3d7, v0
	v_fmac_f32_e32 v0, 0x3f5db3d7, v9
	ds_store_2addr_b64 v30, v[2:3], v[4:5] offset1:162
	ds_store_b64 v30, v[0:1] offset:2592
	global_wb scope:SCOPE_SE
	s_wait_dscnt 0x0
	s_barrier_signal -1
	s_barrier_wait -1
	global_inv scope:SCOPE_SE
	s_and_b32 exec_lo, exec_lo, vcc_lo
	s_cbranch_execz .LBB0_15
; %bb.14:
	s_clause 0x5
	global_load_b64 v[8:9], v30, s[8:9]
	global_load_b64 v[10:11], v30, s[8:9] offset:648
	global_load_b64 v[12:13], v30, s[8:9] offset:1296
	;; [unrolled: 1-line block ×5, first 2 shown]
	ds_load_2addr_b64 v[0:3], v30 offset1:162
	ds_load_2addr_b64 v[4:7], v30 offset0:81 offset1:243
	ds_load_b64 v[20:21], v30 offset:2592
	ds_load_b64 v[22:23], v30 offset:3240
	s_mov_b32 s6, 0xa88f4696
	s_mov_b32 s7, 0x3f60db20
	s_wait_loadcnt_dscnt 0x503
	v_mul_f32_e32 v24, v1, v9
	s_wait_loadcnt_dscnt 0x302
	v_dual_mul_f32 v25, v5, v11 :: v_dual_mul_f32 v26, v3, v13
	v_mul_f32_e32 v9, v0, v9
	v_mul_f32_e32 v11, v4, v11
	v_dual_mul_f32 v13, v2, v13 :: v_dual_fmac_f32 v24, v0, v8
	s_wait_loadcnt_dscnt 0x101
	v_dual_mul_f32 v27, v7, v15 :: v_dual_mul_f32 v30, v21, v17
	v_mul_f32_e32 v15, v6, v15
	v_mul_f32_e32 v17, v20, v17
	s_wait_loadcnt_dscnt 0x0
	v_mul_f32_e32 v31, v23, v19
	v_dual_mul_f32 v19, v22, v19 :: v_dual_fmac_f32 v30, v20, v16
	v_fmac_f32_e32 v26, v2, v12
	v_fma_f32 v8, v8, v1, -v9
	v_fmac_f32_e32 v25, v4, v10
	v_fma_f32 v9, v10, v5, -v11
	v_fma_f32 v10, v12, v3, -v13
	v_fmac_f32_e32 v27, v6, v14
	v_fma_f32 v14, v14, v7, -v15
	;; [unrolled: 3-line block ×3, first 2 shown]
	v_cvt_f64_f32_e32 v[0:1], v24
	v_cvt_f64_f32_e32 v[2:3], v8
	;; [unrolled: 1-line block ×12, first 2 shown]
	v_mad_co_u64_u32 v[24:25], null, s2, v28, 0
	v_mad_co_u64_u32 v[26:27], null, s0, v29, 0
	s_delay_alu instid0(VALU_DEP_1) | instskip(NEXT) | instid1(VALU_DEP_2)
	v_mad_co_u64_u32 v[30:31], null, s3, v28, v[25:26]
	v_mad_co_u64_u32 v[27:28], null, s1, v29, v[27:28]
	s_mul_u64 s[0:1], s[0:1], 0x288
	s_delay_alu instid0(VALU_DEP_2) | instskip(NEXT) | instid1(VALU_DEP_2)
	v_mov_b32_e32 v25, v30
	v_lshlrev_b64_e32 v[26:27], 3, v[26:27]
	s_delay_alu instid0(VALU_DEP_2)
	v_lshlrev_b64_e32 v[24:25], 3, v[24:25]
	s_wait_alu 0xfffe
	v_mul_f64_e32 v[0:1], s[6:7], v[0:1]
	v_mul_f64_e32 v[2:3], s[6:7], v[2:3]
	;; [unrolled: 1-line block ×12, first 2 shown]
	v_cvt_f32_f64_e32 v0, v[0:1]
	v_cvt_f32_f64_e32 v1, v[2:3]
	;; [unrolled: 1-line block ×12, first 2 shown]
	v_add_co_u32 v12, vcc_lo, s4, v24
	v_add_co_ci_u32_e32 v13, vcc_lo, s5, v25, vcc_lo
	s_delay_alu instid0(VALU_DEP_2) | instskip(SKIP_1) | instid1(VALU_DEP_2)
	v_add_co_u32 v12, vcc_lo, v12, v26
	s_wait_alu 0xfffd
	v_add_co_ci_u32_e32 v13, vcc_lo, v13, v27, vcc_lo
	s_delay_alu instid0(VALU_DEP_2) | instskip(SKIP_1) | instid1(VALU_DEP_2)
	v_add_co_u32 v14, vcc_lo, v12, s0
	s_wait_alu 0xfffd
	;; [unrolled: 4-line block ×6, first 2 shown]
	v_add_co_ci_u32_e32 v23, vcc_lo, s1, v21, vcc_lo
	s_clause 0x4
	global_store_b64 v[12:13], v[0:1], off
	global_store_b64 v[14:15], v[2:3], off
	;; [unrolled: 1-line block ×6, first 2 shown]
.LBB0_15:
	s_nop 0
	s_sendmsg sendmsg(MSG_DEALLOC_VGPRS)
	s_endpgm
	.section	.rodata,"a",@progbits
	.p2align	6, 0x0
	.amdhsa_kernel bluestein_single_fwd_len486_dim1_sp_op_CI_CI
		.amdhsa_group_segment_fixed_size 3888
		.amdhsa_private_segment_fixed_size 0
		.amdhsa_kernarg_size 104
		.amdhsa_user_sgpr_count 2
		.amdhsa_user_sgpr_dispatch_ptr 0
		.amdhsa_user_sgpr_queue_ptr 0
		.amdhsa_user_sgpr_kernarg_segment_ptr 1
		.amdhsa_user_sgpr_dispatch_id 0
		.amdhsa_user_sgpr_private_segment_size 0
		.amdhsa_wavefront_size32 1
		.amdhsa_uses_dynamic_stack 0
		.amdhsa_enable_private_segment 0
		.amdhsa_system_sgpr_workgroup_id_x 1
		.amdhsa_system_sgpr_workgroup_id_y 0
		.amdhsa_system_sgpr_workgroup_id_z 0
		.amdhsa_system_sgpr_workgroup_info 0
		.amdhsa_system_vgpr_workitem_id 0
		.amdhsa_next_free_vgpr 66
		.amdhsa_next_free_sgpr 16
		.amdhsa_reserve_vcc 1
		.amdhsa_float_round_mode_32 0
		.amdhsa_float_round_mode_16_64 0
		.amdhsa_float_denorm_mode_32 3
		.amdhsa_float_denorm_mode_16_64 3
		.amdhsa_fp16_overflow 0
		.amdhsa_workgroup_processor_mode 1
		.amdhsa_memory_ordered 1
		.amdhsa_forward_progress 0
		.amdhsa_round_robin_scheduling 0
		.amdhsa_exception_fp_ieee_invalid_op 0
		.amdhsa_exception_fp_denorm_src 0
		.amdhsa_exception_fp_ieee_div_zero 0
		.amdhsa_exception_fp_ieee_overflow 0
		.amdhsa_exception_fp_ieee_underflow 0
		.amdhsa_exception_fp_ieee_inexact 0
		.amdhsa_exception_int_div_zero 0
	.end_amdhsa_kernel
	.text
.Lfunc_end0:
	.size	bluestein_single_fwd_len486_dim1_sp_op_CI_CI, .Lfunc_end0-bluestein_single_fwd_len486_dim1_sp_op_CI_CI
                                        ; -- End function
	.section	.AMDGPU.csdata,"",@progbits
; Kernel info:
; codeLenInByte = 4896
; NumSgprs: 18
; NumVgprs: 66
; ScratchSize: 0
; MemoryBound: 0
; FloatMode: 240
; IeeeMode: 1
; LDSByteSize: 3888 bytes/workgroup (compile time only)
; SGPRBlocks: 2
; VGPRBlocks: 8
; NumSGPRsForWavesPerEU: 18
; NumVGPRsForWavesPerEU: 66
; Occupancy: 15
; WaveLimiterHint : 1
; COMPUTE_PGM_RSRC2:SCRATCH_EN: 0
; COMPUTE_PGM_RSRC2:USER_SGPR: 2
; COMPUTE_PGM_RSRC2:TRAP_HANDLER: 0
; COMPUTE_PGM_RSRC2:TGID_X_EN: 1
; COMPUTE_PGM_RSRC2:TGID_Y_EN: 0
; COMPUTE_PGM_RSRC2:TGID_Z_EN: 0
; COMPUTE_PGM_RSRC2:TIDIG_COMP_CNT: 0
	.text
	.p2alignl 7, 3214868480
	.fill 96, 4, 3214868480
	.type	__hip_cuid_cd0812bec527b341,@object ; @__hip_cuid_cd0812bec527b341
	.section	.bss,"aw",@nobits
	.globl	__hip_cuid_cd0812bec527b341
__hip_cuid_cd0812bec527b341:
	.byte	0                               ; 0x0
	.size	__hip_cuid_cd0812bec527b341, 1

	.ident	"AMD clang version 19.0.0git (https://github.com/RadeonOpenCompute/llvm-project roc-6.4.0 25133 c7fe45cf4b819c5991fe208aaa96edf142730f1d)"
	.section	".note.GNU-stack","",@progbits
	.addrsig
	.addrsig_sym __hip_cuid_cd0812bec527b341
	.amdgpu_metadata
---
amdhsa.kernels:
  - .args:
      - .actual_access:  read_only
        .address_space:  global
        .offset:         0
        .size:           8
        .value_kind:     global_buffer
      - .actual_access:  read_only
        .address_space:  global
        .offset:         8
        .size:           8
        .value_kind:     global_buffer
      - .actual_access:  read_only
        .address_space:  global
        .offset:         16
        .size:           8
        .value_kind:     global_buffer
      - .actual_access:  read_only
        .address_space:  global
        .offset:         24
        .size:           8
        .value_kind:     global_buffer
      - .actual_access:  read_only
        .address_space:  global
        .offset:         32
        .size:           8
        .value_kind:     global_buffer
      - .offset:         40
        .size:           8
        .value_kind:     by_value
      - .address_space:  global
        .offset:         48
        .size:           8
        .value_kind:     global_buffer
      - .address_space:  global
        .offset:         56
        .size:           8
        .value_kind:     global_buffer
      - .address_space:  global
        .offset:         64
        .size:           8
        .value_kind:     global_buffer
      - .address_space:  global
        .offset:         72
        .size:           8
        .value_kind:     global_buffer
      - .offset:         80
        .size:           4
        .value_kind:     by_value
      - .address_space:  global
        .offset:         88
        .size:           8
        .value_kind:     global_buffer
      - .address_space:  global
        .offset:         96
        .size:           8
        .value_kind:     global_buffer
    .group_segment_fixed_size: 3888
    .kernarg_segment_align: 8
    .kernarg_segment_size: 104
    .language:       OpenCL C
    .language_version:
      - 2
      - 0
    .max_flat_workgroup_size: 162
    .name:           bluestein_single_fwd_len486_dim1_sp_op_CI_CI
    .private_segment_fixed_size: 0
    .sgpr_count:     18
    .sgpr_spill_count: 0
    .symbol:         bluestein_single_fwd_len486_dim1_sp_op_CI_CI.kd
    .uniform_work_group_size: 1
    .uses_dynamic_stack: false
    .vgpr_count:     66
    .vgpr_spill_count: 0
    .wavefront_size: 32
    .workgroup_processor_mode: 1
amdhsa.target:   amdgcn-amd-amdhsa--gfx1201
amdhsa.version:
  - 1
  - 2
...

	.end_amdgpu_metadata
